;; amdgpu-corpus repo=ROCm/rocFFT kind=compiled arch=gfx950 opt=O3
	.text
	.amdgcn_target "amdgcn-amd-amdhsa--gfx950"
	.amdhsa_code_object_version 6
	.protected	fft_rtc_back_len224_factors_7_2_2_2_2_2_wgs_64_tpt_16_halfLds_sp_ip_CI_unitstride_sbrr_C2R_dirReg ; -- Begin function fft_rtc_back_len224_factors_7_2_2_2_2_2_wgs_64_tpt_16_halfLds_sp_ip_CI_unitstride_sbrr_C2R_dirReg
	.globl	fft_rtc_back_len224_factors_7_2_2_2_2_2_wgs_64_tpt_16_halfLds_sp_ip_CI_unitstride_sbrr_C2R_dirReg
	.p2align	8
	.type	fft_rtc_back_len224_factors_7_2_2_2_2_2_wgs_64_tpt_16_halfLds_sp_ip_CI_unitstride_sbrr_C2R_dirReg,@function
fft_rtc_back_len224_factors_7_2_2_2_2_2_wgs_64_tpt_16_halfLds_sp_ip_CI_unitstride_sbrr_C2R_dirReg: ; @fft_rtc_back_len224_factors_7_2_2_2_2_2_wgs_64_tpt_16_halfLds_sp_ip_CI_unitstride_sbrr_C2R_dirReg
; %bb.0:
	s_load_dwordx2 s[8:9], s[0:1], 0x50
	s_load_dwordx4 s[4:7], s[0:1], 0x0
	s_load_dwordx2 s[10:11], s[0:1], 0x18
	v_lshrrev_b32_e32 v1, 4, v0
	v_lshl_or_b32 v6, s2, 2, v1
	v_mov_b32_e32 v4, 0
	s_waitcnt lgkmcnt(0)
	v_cmp_lt_u64_e64 s[2:3], s[6:7], 2
	v_mov_b32_e32 v7, v4
	s_and_b64 vcc, exec, s[2:3]
	v_mov_b64_e32 v[2:3], 0
	s_cbranch_vccnz .LBB0_8
; %bb.1:
	s_load_dwordx2 s[2:3], s[0:1], 0x10
	s_add_u32 s12, s10, 8
	s_addc_u32 s13, s11, 0
	s_mov_b64 s[14:15], 1
	v_mov_b64_e32 v[2:3], 0
	s_waitcnt lgkmcnt(0)
	s_add_u32 s16, s2, 8
	s_addc_u32 s17, s3, 0
.LBB0_2:                                ; =>This Inner Loop Header: Depth=1
	s_load_dwordx2 s[18:19], s[16:17], 0x0
                                        ; implicit-def: $vgpr8_vgpr9
	s_waitcnt lgkmcnt(0)
	v_or_b32_e32 v5, s19, v7
	v_cmp_ne_u64_e32 vcc, 0, v[4:5]
	s_and_saveexec_b64 s[2:3], vcc
	s_xor_b64 s[20:21], exec, s[2:3]
	s_cbranch_execz .LBB0_4
; %bb.3:                                ;   in Loop: Header=BB0_2 Depth=1
	v_cvt_f32_u32_e32 v5, s18
	v_cvt_f32_u32_e32 v8, s19
	s_sub_u32 s2, 0, s18
	s_subb_u32 s3, 0, s19
	v_fmac_f32_e32 v5, 0x4f800000, v8
	v_rcp_f32_e32 v5, v5
	s_nop 0
	v_mul_f32_e32 v5, 0x5f7ffffc, v5
	v_mul_f32_e32 v8, 0x2f800000, v5
	v_trunc_f32_e32 v8, v8
	v_fmac_f32_e32 v5, 0xcf800000, v8
	v_cvt_u32_f32_e32 v12, v8
	v_cvt_u32_f32_e32 v5, v5
	v_mul_lo_u32 v8, s2, v12
	v_mul_hi_u32 v10, s2, v5
	v_mul_lo_u32 v9, s3, v5
	v_add_u32_e32 v10, v10, v8
	v_mul_lo_u32 v13, s2, v5
	v_add_u32_e32 v14, v10, v9
	v_mul_hi_u32 v8, v5, v13
	v_mul_hi_u32 v11, v5, v14
	v_mul_lo_u32 v10, v5, v14
	v_mov_b32_e32 v9, v4
	v_lshl_add_u64 v[8:9], v[8:9], 0, v[10:11]
	v_mul_hi_u32 v11, v12, v13
	v_mul_lo_u32 v13, v12, v13
	v_add_co_u32_e32 v8, vcc, v8, v13
	v_mul_hi_u32 v10, v12, v14
	s_nop 0
	v_addc_co_u32_e32 v8, vcc, v9, v11, vcc
	v_mov_b32_e32 v9, v4
	s_nop 0
	v_addc_co_u32_e32 v11, vcc, 0, v10, vcc
	v_mul_lo_u32 v10, v12, v14
	v_lshl_add_u64 v[8:9], v[8:9], 0, v[10:11]
	v_add_co_u32_e32 v5, vcc, v5, v8
	v_mul_lo_u32 v10, s2, v5
	s_nop 0
	v_addc_co_u32_e32 v12, vcc, v12, v9, vcc
	v_mul_lo_u32 v8, s2, v12
	v_mul_hi_u32 v9, s2, v5
	v_add_u32_e32 v8, v9, v8
	v_mul_lo_u32 v9, s3, v5
	v_add_u32_e32 v13, v8, v9
	v_mul_hi_u32 v15, v12, v10
	v_mul_lo_u32 v16, v12, v10
	v_mul_hi_u32 v9, v5, v13
	v_mul_lo_u32 v8, v5, v13
	v_mul_hi_u32 v10, v5, v10
	v_mov_b32_e32 v11, v4
	v_lshl_add_u64 v[8:9], v[10:11], 0, v[8:9]
	v_add_co_u32_e32 v8, vcc, v8, v16
	v_mul_hi_u32 v14, v12, v13
	s_nop 0
	v_addc_co_u32_e32 v8, vcc, v9, v15, vcc
	v_mul_lo_u32 v10, v12, v13
	s_nop 0
	v_addc_co_u32_e32 v11, vcc, 0, v14, vcc
	v_mov_b32_e32 v9, v4
	v_lshl_add_u64 v[8:9], v[8:9], 0, v[10:11]
	v_add_co_u32_e32 v5, vcc, v5, v8
	v_mul_hi_u32 v10, v6, v5
	s_nop 0
	v_addc_co_u32_e32 v12, vcc, v12, v9, vcc
	v_mad_u64_u32 v[8:9], s[2:3], v6, v12, 0
	v_mov_b32_e32 v11, v4
	v_lshl_add_u64 v[8:9], v[10:11], 0, v[8:9]
	v_mad_u64_u32 v[10:11], s[2:3], v7, v12, 0
	v_mad_u64_u32 v[12:13], s[2:3], v7, v5, 0
	v_add_co_u32_e32 v5, vcc, v8, v12
	s_nop 1
	v_addc_co_u32_e32 v8, vcc, v9, v13, vcc
	v_mov_b32_e32 v9, v4
	s_nop 0
	v_addc_co_u32_e32 v11, vcc, 0, v11, vcc
	v_lshl_add_u64 v[8:9], v[8:9], 0, v[10:11]
	v_mul_lo_u32 v5, s19, v8
	v_mul_lo_u32 v12, s18, v9
	v_mad_u64_u32 v[10:11], s[2:3], s18, v8, 0
	v_add3_u32 v5, v11, v12, v5
	v_sub_u32_e32 v11, v7, v5
	v_mov_b32_e32 v12, s19
	v_sub_co_u32_e32 v14, vcc, v6, v10
	s_nop 1
	v_subb_co_u32_e64 v10, s[2:3], v11, v12, vcc
	v_subrev_co_u32_e64 v11, s[2:3], s18, v14
	v_subb_co_u32_e32 v5, vcc, v7, v5, vcc
	s_nop 0
	v_subbrev_co_u32_e64 v10, s[2:3], 0, v10, s[2:3]
	v_cmp_le_u32_e64 s[2:3], s19, v10
	v_cmp_le_u32_e32 vcc, s19, v5
	s_nop 0
	v_cndmask_b32_e64 v12, 0, -1, s[2:3]
	v_cmp_le_u32_e64 s[2:3], s18, v11
	s_nop 1
	v_cndmask_b32_e64 v11, 0, -1, s[2:3]
	v_cmp_eq_u32_e64 s[2:3], s19, v10
	s_nop 1
	v_cndmask_b32_e64 v15, v12, v11, s[2:3]
	v_lshl_add_u64 v[10:11], v[8:9], 0, 2
	v_lshl_add_u64 v[12:13], v[8:9], 0, 1
	v_cmp_ne_u32_e64 s[2:3], 0, v15
	s_nop 1
	v_cndmask_b32_e64 v11, v13, v11, s[2:3]
	v_cndmask_b32_e64 v13, 0, -1, vcc
	v_cmp_le_u32_e32 vcc, s18, v14
	s_nop 1
	v_cndmask_b32_e64 v14, 0, -1, vcc
	v_cmp_eq_u32_e32 vcc, s19, v5
	s_nop 1
	v_cndmask_b32_e32 v5, v13, v14, vcc
	v_cmp_ne_u32_e32 vcc, 0, v5
	v_cndmask_b32_e64 v5, v12, v10, s[2:3]
	s_nop 0
	v_cndmask_b32_e32 v9, v9, v11, vcc
	v_cndmask_b32_e32 v8, v8, v5, vcc
.LBB0_4:                                ;   in Loop: Header=BB0_2 Depth=1
	s_andn2_saveexec_b64 s[2:3], s[20:21]
	s_cbranch_execz .LBB0_6
; %bb.5:                                ;   in Loop: Header=BB0_2 Depth=1
	v_cvt_f32_u32_e32 v5, s18
	s_sub_i32 s20, 0, s18
	v_rcp_iflag_f32_e32 v5, v5
	s_nop 0
	v_mul_f32_e32 v5, 0x4f7ffffe, v5
	v_cvt_u32_f32_e32 v5, v5
	v_mul_lo_u32 v8, s20, v5
	v_mul_hi_u32 v8, v5, v8
	v_add_u32_e32 v5, v5, v8
	v_mul_hi_u32 v5, v6, v5
	v_mul_lo_u32 v8, v5, s18
	v_sub_u32_e32 v8, v6, v8
	v_add_u32_e32 v9, 1, v5
	v_subrev_u32_e32 v10, s18, v8
	v_cmp_le_u32_e32 vcc, s18, v8
	s_nop 1
	v_cndmask_b32_e32 v8, v8, v10, vcc
	v_cndmask_b32_e32 v5, v5, v9, vcc
	v_add_u32_e32 v9, 1, v5
	v_cmp_le_u32_e32 vcc, s18, v8
	s_nop 1
	v_cndmask_b32_e32 v8, v5, v9, vcc
	v_mov_b32_e32 v9, v4
.LBB0_6:                                ;   in Loop: Header=BB0_2 Depth=1
	s_or_b64 exec, exec, s[2:3]
	v_mad_u64_u32 v[10:11], s[2:3], v8, s18, 0
	s_load_dwordx2 s[2:3], s[12:13], 0x0
	v_mul_lo_u32 v5, v9, s18
	v_mul_lo_u32 v12, v8, s19
	v_add3_u32 v5, v11, v12, v5
	v_sub_co_u32_e32 v6, vcc, v6, v10
	s_add_u32 s14, s14, 1
	s_nop 0
	v_subb_co_u32_e32 v5, vcc, v7, v5, vcc
	s_addc_u32 s15, s15, 0
	s_waitcnt lgkmcnt(0)
	v_mul_lo_u32 v5, s2, v5
	v_mul_lo_u32 v7, s3, v6
	v_mad_u64_u32 v[2:3], s[2:3], s2, v6, v[2:3]
	s_add_u32 s12, s12, 8
	v_add3_u32 v3, v7, v3, v5
	s_addc_u32 s13, s13, 0
	v_mov_b64_e32 v[6:7], s[6:7]
	s_add_u32 s16, s16, 8
	v_cmp_ge_u64_e32 vcc, s[14:15], v[6:7]
	s_addc_u32 s17, s17, 0
	s_cbranch_vccnz .LBB0_9
; %bb.7:                                ;   in Loop: Header=BB0_2 Depth=1
	v_mov_b64_e32 v[6:7], v[8:9]
	s_branch .LBB0_2
.LBB0_8:
	v_mov_b64_e32 v[8:9], v[6:7]
.LBB0_9:
	s_lshl_b64 s[2:3], s[6:7], 3
	s_add_u32 s2, s10, s2
	s_addc_u32 s3, s11, s3
	s_load_dwordx2 s[6:7], s[2:3], 0x0
	s_load_dwordx2 s[10:11], s[0:1], 0x20
	v_mul_u32_u24_e32 v10, 0xe1, v1
	s_waitcnt lgkmcnt(0)
	v_mul_lo_u32 v6, s6, v9
	v_mul_lo_u32 v7, s7, v8
	v_mad_u64_u32 v[4:5], s[0:1], s6, v8, v[2:3]
	v_add3_u32 v5, v7, v5, v6
	v_and_b32_e32 v6, 15, v0
	v_cmp_gt_u64_e32 vcc, s[10:11], v[8:9]
	v_mov_b32_e32 v3, 0
	v_lshl_add_u64 v[0:1], v[4:5], 3, s[8:9]
	v_lshlrev_b32_e32 v9, 3, v10
	v_mov_b32_e32 v2, v6
	s_and_saveexec_b64 s[2:3], vcc
	s_cbranch_execz .LBB0_13
; %bb.10:
	v_lshlrev_b32_e32 v2, 3, v6
	v_lshl_add_u64 v[4:5], v[0:1], 0, v[2:3]
	global_load_dwordx2 v[12:13], v[4:5], off
	global_load_dwordx2 v[14:15], v[4:5], off offset:128
	global_load_dwordx2 v[16:17], v[4:5], off offset:256
	;; [unrolled: 1-line block ×13, first 2 shown]
	v_cmp_eq_u32_e64 s[0:1], 15, v6
	v_add3_u32 v2, 0, v9, v2
	v_mov_b64_e32 v[4:5], v[6:7]
	s_waitcnt vmcnt(12)
	ds_write2_b64 v2, v[12:13], v[14:15] offset1:16
	s_waitcnt vmcnt(10)
	ds_write2_b64 v2, v[16:17], v[18:19] offset0:32 offset1:48
	s_waitcnt vmcnt(8)
	ds_write2_b64 v2, v[20:21], v[22:23] offset0:64 offset1:80
	;; [unrolled: 2-line block ×6, first 2 shown]
	s_and_saveexec_b64 s[6:7], s[0:1]
	s_cbranch_execz .LBB0_12
; %bb.11:
	global_load_dwordx2 v[4:5], v[0:1], off offset:1792
	v_mov_b32_e32 v6, 15
	s_waitcnt vmcnt(0)
	ds_write_b64 v2, v[4:5] offset:1672
	v_mov_b64_e32 v[4:5], 15
.LBB0_12:
	s_or_b64 exec, exec, s[6:7]
	v_mov_b32_e32 v2, v6
	v_mov_b64_e32 v[6:7], v[4:5]
.LBB0_13:
	s_or_b64 exec, exec, s[2:3]
	v_lshl_add_u32 v3, v10, 3, 0
	v_lshlrev_b32_e32 v8, 3, v2
	v_add_u32_e32 v7, v3, v8
	s_waitcnt lgkmcnt(0)
	; wave barrier
	s_waitcnt lgkmcnt(0)
	v_sub_u32_e32 v11, v3, v8
	ds_read_b32 v5, v7
	ds_read_b32 v10, v11 offset:1792
	v_cmp_ne_u32_e64 s[0:1], 0, v2
	v_lshlrev_b32_e32 v6, 3, v6
	s_waitcnt lgkmcnt(0)
	v_add_f32_e32 v4, v10, v5
	v_sub_f32_e32 v5, v5, v10
	s_and_saveexec_b64 s[2:3], s[0:1]
	s_xor_b64 s[0:1], exec, s[2:3]
	s_cbranch_execz .LBB0_15
; %bb.14:
	global_load_dwordx2 v[12:13], v6, s[4:5] offset:1736
	ds_read_b32 v10, v11 offset:1796
	ds_read_b32 v17, v7 offset:4
	v_mov_b32_e32 v14, v5
	v_mov_b32_e32 v16, v4
	;; [unrolled: 1-line block ×3, first 2 shown]
	s_waitcnt lgkmcnt(0)
	v_add_f32_e32 v15, v10, v17
	v_sub_f32_e32 v17, v17, v10
	v_mov_b32_e32 v18, v15
	s_waitcnt vmcnt(0)
	v_pk_mul_f32 v[20:21], v[14:15], v[12:13] op_sel:[0,1]
	v_pk_fma_f32 v[14:15], v[14:15], v[12:13], v[16:17] op_sel:[0,1,0]
	v_mov_b32_e32 v5, v21
	v_mov_b32_e32 v21, v17
	v_pk_fma_f32 v[22:23], v[12:13], v[18:19], v[14:15] neg_lo:[1,0,0] neg_hi:[1,0,0]
	v_pk_fma_f32 v[14:15], v[12:13], v[18:19], v[14:15] op_sel_hi:[0,1,1]
	v_pk_add_f32 v[4:5], v[4:5], v[20:21] neg_lo:[0,1] neg_hi:[0,1]
	v_mov_b32_e32 v23, v15
	v_pk_fma_f32 v[4:5], v[12:13], v[18:19], v[4:5] op_sel_hi:[0,1,1]
	ds_write_b64 v11, v[4:5] offset:1792
	v_mov_b64_e32 v[4:5], v[22:23]
.LBB0_15:
	s_andn2_saveexec_b64 s[0:1], s[0:1]
	s_cbranch_execz .LBB0_17
; %bb.16:
	ds_read_b64 v[12:13], v3 offset:896
	s_mov_b32 s2, 2.0
	s_mov_b32 s3, -2.0
	s_waitcnt lgkmcnt(0)
	v_pk_mul_f32 v[12:13], v[12:13], s[2:3]
	ds_write_b64 v3, v[12:13] offset:896
.LBB0_17:
	s_or_b64 exec, exec, s[0:1]
	s_add_u32 s0, s4, 0x6c8
	s_addc_u32 s1, s5, 0
	global_load_dwordx2 v[12:13], v8, s[0:1] offset:128
	global_load_dwordx2 v[14:15], v8, s[0:1] offset:256
	;; [unrolled: 1-line block ×3, first 2 shown]
	ds_write_b64 v7, v[4:5]
	ds_read_b64 v[4:5], v11 offset:1664
	ds_read_b64 v[18:19], v7 offset:128
	global_load_dwordx2 v[20:21], v8, s[0:1] offset:512
	v_add3_u32 v10, 0, v8, v9
	s_mov_b32 s14, 0xbeae86e6
	s_mov_b32 s15, 0x3f08b237
	s_waitcnt lgkmcnt(0)
	v_pk_add_f32 v[22:23], v[18:19], v[4:5] neg_lo:[0,1] neg_hi:[0,1]
	v_pk_add_f32 v[4:5], v[18:19], v[4:5]
	v_mov_b32_e32 v18, v22
	v_mov_b32_e32 v19, v5
	;; [unrolled: 1-line block ×6, first 2 shown]
	s_mov_b32 s12, 0x3d64c772
	s_mov_b32 s16, s15
	;; [unrolled: 1-line block ×9, first 2 shown]
	v_or_b32_e32 v61, 32, v2
	v_mul_lo_u16_e32 v62, 37, v61
	v_or_b32_e32 v64, 0x60, v2
	v_lshrrev_b16_e32 v63, 8, v62
	v_mul_lo_u16_e32 v65, 0x93, v64
	v_lshrrev_b16_e32 v66, 10, v65
	v_or_b32_e32 v57, 16, v2
	v_mul_lo_u16_e32 v59, 37, v57
	v_lshrrev_b16_e32 v60, 8, v59
	s_waitcnt vmcnt(3)
	v_pk_mul_f32 v[28:29], v[18:19], v[12:13] op_sel:[0,1]
	v_pk_fma_f32 v[18:19], v[18:19], v[12:13], v[24:25] op_sel:[0,1,0]
	v_mov_b32_e32 v5, v29
	v_mov_b32_e32 v29, v23
	v_pk_fma_f32 v[24:25], v[12:13], v[26:27], v[18:19] neg_lo:[1,0,0] neg_hi:[1,0,0]
	v_pk_fma_f32 v[18:19], v[12:13], v[26:27], v[18:19] op_sel_hi:[0,1,1]
	v_pk_add_f32 v[4:5], v[4:5], v[28:29] neg_lo:[0,1] neg_hi:[0,1]
	v_mov_b32_e32 v25, v19
	v_pk_fma_f32 v[4:5], v[12:13], v[26:27], v[4:5] op_sel_hi:[0,1,1]
	ds_write_b64 v7, v[24:25] offset:128
	ds_write_b64 v11, v[4:5] offset:1664
	ds_read_b64 v[4:5], v11 offset:1536
	ds_read_b64 v[12:13], v7 offset:256
	global_load_dwordx2 v[18:19], v8, s[0:1] offset:640
	s_waitcnt lgkmcnt(0)
	v_pk_add_f32 v[22:23], v[12:13], v[4:5] neg_lo:[0,1] neg_hi:[0,1]
	v_pk_add_f32 v[4:5], v[12:13], v[4:5]
	v_mov_b32_e32 v12, v22
	v_mov_b32_e32 v13, v5
	;; [unrolled: 1-line block ×4, first 2 shown]
	s_waitcnt vmcnt(3)
	v_pk_mul_f32 v[28:29], v[12:13], v[14:15] op_sel:[0,1]
	v_mov_b32_e32 v26, v5
	v_mov_b32_e32 v27, v22
	v_pk_fma_f32 v[12:13], v[12:13], v[14:15], v[24:25] op_sel:[0,1,0]
	v_mov_b32_e32 v5, v29
	v_mov_b32_e32 v29, v23
	v_pk_fma_f32 v[24:25], v[14:15], v[26:27], v[12:13] neg_lo:[1,0,0] neg_hi:[1,0,0]
	v_pk_fma_f32 v[12:13], v[14:15], v[26:27], v[12:13] op_sel_hi:[0,1,1]
	v_pk_add_f32 v[4:5], v[4:5], v[28:29] neg_lo:[0,1] neg_hi:[0,1]
	v_mov_b32_e32 v25, v13
	v_pk_fma_f32 v[4:5], v[14:15], v[26:27], v[4:5] op_sel_hi:[0,1,1]
	ds_write_b64 v7, v[24:25] offset:256
	ds_write_b64 v11, v[4:5] offset:1536
	ds_read_b64 v[4:5], v11 offset:1408
	ds_read_b64 v[12:13], v7 offset:384
	global_load_dwordx2 v[14:15], v8, s[0:1] offset:768
	s_mov_b32 s0, 0xbee1c552
	s_waitcnt lgkmcnt(0)
	v_pk_add_f32 v[22:23], v[12:13], v[4:5] neg_lo:[0,1] neg_hi:[0,1]
	v_pk_add_f32 v[4:5], v[12:13], v[4:5]
	v_mov_b32_e32 v12, v22
	v_mov_b32_e32 v13, v5
	v_mov_b32_e32 v24, v4
	v_mov_b32_e32 v25, v23
	s_waitcnt vmcnt(3)
	v_pk_mul_f32 v[28:29], v[12:13], v[16:17] op_sel:[0,1]
	v_mov_b32_e32 v26, v5
	v_mov_b32_e32 v27, v22
	v_pk_fma_f32 v[12:13], v[12:13], v[16:17], v[24:25] op_sel:[0,1,0]
	v_mov_b32_e32 v5, v29
	v_mov_b32_e32 v29, v23
	v_pk_fma_f32 v[24:25], v[16:17], v[26:27], v[12:13] neg_lo:[1,0,0] neg_hi:[1,0,0]
	v_pk_fma_f32 v[12:13], v[16:17], v[26:27], v[12:13] op_sel_hi:[0,1,1]
	v_pk_add_f32 v[4:5], v[4:5], v[28:29] neg_lo:[0,1] neg_hi:[0,1]
	v_mov_b32_e32 v25, v13
	v_pk_fma_f32 v[4:5], v[16:17], v[26:27], v[4:5] op_sel_hi:[0,1,1]
	ds_write_b64 v7, v[24:25] offset:384
	ds_write_b64 v11, v[4:5] offset:1408
	ds_read_b64 v[4:5], v11 offset:1280
	ds_read_b64 v[12:13], v7 offset:512
	s_waitcnt lgkmcnt(0)
	v_pk_add_f32 v[16:17], v[12:13], v[4:5] neg_lo:[0,1] neg_hi:[0,1]
	v_pk_add_f32 v[4:5], v[12:13], v[4:5]
	v_mov_b32_e32 v12, v16
	v_mov_b32_e32 v13, v5
	v_mov_b32_e32 v22, v4
	v_mov_b32_e32 v23, v17
	s_waitcnt vmcnt(2)
	v_pk_mul_f32 v[26:27], v[12:13], v[20:21] op_sel:[0,1]
	v_mov_b32_e32 v24, v5
	v_mov_b32_e32 v25, v16
	v_pk_fma_f32 v[12:13], v[12:13], v[20:21], v[22:23] op_sel:[0,1,0]
	v_mov_b32_e32 v5, v27
	v_mov_b32_e32 v27, v17
	v_pk_fma_f32 v[22:23], v[20:21], v[24:25], v[12:13] neg_lo:[1,0,0] neg_hi:[1,0,0]
	v_pk_fma_f32 v[12:13], v[20:21], v[24:25], v[12:13] op_sel_hi:[0,1,1]
	v_pk_add_f32 v[4:5], v[4:5], v[26:27] neg_lo:[0,1] neg_hi:[0,1]
	v_mov_b32_e32 v23, v13
	v_pk_fma_f32 v[4:5], v[20:21], v[24:25], v[4:5] op_sel_hi:[0,1,1]
	ds_write_b64 v7, v[22:23] offset:512
	ds_write_b64 v11, v[4:5] offset:1280
	ds_read_b64 v[4:5], v11 offset:1152
	ds_read_b64 v[12:13], v7 offset:640
	;; [unrolled: 23-line block ×3, first 2 shown]
	s_waitcnt lgkmcnt(0)
	v_pk_add_f32 v[16:17], v[12:13], v[4:5] neg_lo:[0,1] neg_hi:[0,1]
	v_pk_add_f32 v[4:5], v[12:13], v[4:5]
	v_mov_b32_e32 v12, v16
	v_mov_b32_e32 v13, v5
	;; [unrolled: 1-line block ×4, first 2 shown]
	s_waitcnt vmcnt(0)
	v_pk_mul_f32 v[22:23], v[12:13], v[14:15] op_sel:[0,1]
	v_mov_b32_e32 v20, v5
	v_mov_b32_e32 v21, v16
	v_pk_fma_f32 v[12:13], v[12:13], v[14:15], v[18:19] op_sel:[0,1,0]
	v_mov_b32_e32 v5, v23
	v_mov_b32_e32 v23, v17
	v_pk_fma_f32 v[18:19], v[14:15], v[20:21], v[12:13] neg_lo:[1,0,0] neg_hi:[1,0,0]
	v_pk_fma_f32 v[12:13], v[14:15], v[20:21], v[12:13] op_sel_hi:[0,1,1]
	v_pk_add_f32 v[4:5], v[4:5], v[22:23] neg_lo:[0,1] neg_hi:[0,1]
	v_mov_b32_e32 v19, v13
	v_pk_fma_f32 v[4:5], v[14:15], v[20:21], v[4:5] op_sel_hi:[0,1,1]
	ds_write_b64 v7, v[18:19] offset:768
	ds_write_b64 v11, v[4:5] offset:1024
	s_waitcnt lgkmcnt(0)
	; wave barrier
	s_waitcnt lgkmcnt(0)
	s_waitcnt lgkmcnt(0)
	; wave barrier
	s_waitcnt lgkmcnt(0)
	ds_read2_b64 v[12:15], v10 offset0:16 offset1:32
	ds_read2_b64 v[16:19], v10 offset0:48 offset1:64
	;; [unrolled: 1-line block ×6, first 2 shown]
	ds_read_b64 v[4:5], v7
	ds_read_b64 v[36:37], v10 offset:1664
	s_waitcnt lgkmcnt(4)
	v_pk_add_f32 v[38:39], v[14:15], v[26:27]
	s_waitcnt lgkmcnt(3)
	v_pk_add_f32 v[40:41], v[18:19], v[30:31]
	;; [unrolled: 2-line block ×3, first 2 shown]
	v_pk_add_f32 v[14:15], v[14:15], v[26:27] neg_lo:[0,1] neg_hi:[0,1]
	v_pk_add_f32 v[26:27], v[40:41], v[38:39]
	v_pk_add_f32 v[18:19], v[18:19], v[30:31] neg_lo:[0,1] neg_hi:[0,1]
	v_pk_add_f32 v[22:23], v[34:35], v[22:23] neg_lo:[0,1] neg_hi:[0,1]
	v_mov_b32_e32 v30, v42
	v_mov_b32_e32 v31, v39
	;; [unrolled: 1-line block ×4, first 2 shown]
	v_pk_add_f32 v[26:27], v[42:43], v[26:27]
	v_pk_add_f32 v[30:31], v[30:31], v[34:35] neg_lo:[0,1] neg_hi:[0,1]
	v_mov_b32_e32 v34, v38
	v_mov_b32_e32 v43, v41
	;; [unrolled: 1-line block ×6, first 2 shown]
	v_pk_add_f32 v[34:35], v[34:35], v[42:43] neg_lo:[0,1] neg_hi:[0,1]
	v_pk_add_f32 v[42:43], v[22:23], v[18:19]
	v_pk_add_f32 v[44:45], v[44:45], v[46:47] neg_lo:[0,1] neg_hi:[0,1]
	v_mov_b32_e32 v46, v15
	v_mov_b32_e32 v22, v23
	;; [unrolled: 1-line block ×3, first 2 shown]
	v_pk_add_f32 v[22:23], v[46:47], v[22:23] neg_lo:[0,1] neg_hi:[0,1]
	v_pk_add_f32 v[42:43], v[42:43], v[14:15]
	v_pk_mul_f32 v[44:45], v[44:45], s[16:17]
	v_pk_mul_f32 v[30:31], v[30:31], s[12:13]
	v_pk_mul_f32 v[46:47], v[42:43], s[0:1] op_sel_hi:[1,0]
	v_pk_fma_f32 v[48:49], v[22:23], s[14:15], v[44:45]
	s_waitcnt lgkmcnt(1)
	v_pk_add_f32 v[4:5], v[4:5], v[26:27]
	v_pk_add_f32 v[46:47], v[46:47], v[48:49] op_sel:[1,0] op_sel_hi:[0,1]
	v_pk_fma_f32 v[48:49], v[34:35], s[10:11], v[30:31]
	v_pk_mul_f32 v[34:35], v[34:35], s[10:11]
	v_pk_mul_f32 v[22:23], v[22:23], s[14:15]
	v_pk_fma_f32 v[26:27], v[26:27], s[8:9], v[4:5] op_sel_hi:[1,0,1] neg_lo:[1,0,0] neg_hi:[1,0,0]
	v_pk_add_f32 v[38:39], v[40:41], v[38:39] neg_lo:[0,1] neg_hi:[0,1]
	v_pk_add_f32 v[14:15], v[18:19], v[14:15] neg_lo:[0,1] neg_hi:[0,1]
	v_mov_b32_e32 v18, v34
	v_mov_b32_e32 v19, v31
	;; [unrolled: 1-line block ×7, first 2 shown]
	v_pk_add_f32 v[48:49], v[48:49], v[26:27]
	v_pk_fma_f32 v[18:19], v[38:39], s[6:7], v[18:19] op_sel_hi:[1,0,1] neg_lo:[1,0,1] neg_hi:[1,0,1]
	v_pk_fma_f32 v[40:41], v[14:15], s[2:3], v[40:41] op_sel_hi:[1,0,1] neg_lo:[1,0,1] neg_hi:[1,0,1]
	;; [unrolled: 1-line block ×4, first 2 shown]
	v_pk_add_f32 v[50:51], v[48:49], v[46:47]
	v_pk_add_f32 v[46:47], v[48:49], v[46:47] neg_lo:[0,1] neg_hi:[0,1]
	v_pk_add_f32 v[18:19], v[18:19], v[26:27]
	v_pk_fma_f32 v[40:41], v[42:43], s[0:1], v[40:41] op_sel_hi:[1,0,1]
	v_pk_add_f32 v[22:23], v[30:31], v[26:27]
	v_pk_fma_f32 v[14:15], v[42:43], s[0:1], v[14:15] op_sel_hi:[1,0,1]
	v_pk_add_f32 v[48:49], v[18:19], v[40:41] op_sel:[0,1] op_sel_hi:[1,0]
	v_pk_add_f32 v[18:19], v[18:19], v[40:41] op_sel:[0,1] op_sel_hi:[1,0] neg_lo:[0,1] neg_hi:[0,1]
	v_mad_u32_u24 v11, v2, 48, v10
	v_pk_add_f32 v[26:27], v[22:23], v[14:15] op_sel:[0,1] op_sel_hi:[1,0] neg_lo:[0,1] neg_hi:[0,1]
	v_pk_add_f32 v[14:15], v[22:23], v[14:15] op_sel:[0,1] op_sel_hi:[1,0]
	v_mov_b32_e32 v40, v50
	v_mov_b32_e32 v41, v47
	s_waitcnt lgkmcnt(0)
	; wave barrier
	s_waitcnt lgkmcnt(0)
	ds_write2_b64 v11, v[4:5], v[40:41] offset1:1
	v_mov_b32_e32 v4, v48
	v_mov_b32_e32 v5, v19
	;; [unrolled: 1-line block ×6, first 2 shown]
	v_pk_add_f32 v[22:23], v[16:17], v[36:37]
	v_pk_add_f32 v[30:31], v[20:21], v[24:25]
	;; [unrolled: 1-line block ×3, first 2 shown]
	ds_write2_b64 v11, v[4:5], v[40:41] offset0:2 offset1:3
	ds_write2_b64 v11, v[14:15], v[18:19] offset0:4 offset1:5
	v_pk_add_f32 v[4:5], v[16:17], v[36:37] neg_lo:[0,1] neg_hi:[0,1]
	v_pk_add_f32 v[14:15], v[20:21], v[24:25] neg_lo:[0,1] neg_hi:[0,1]
	;; [unrolled: 1-line block ×3, first 2 shown]
	v_pk_add_f32 v[38:39], v[30:31], v[22:23]
	v_mov_b32_e32 v18, v34
	v_mov_b32_e32 v19, v23
	;; [unrolled: 1-line block ×8, first 2 shown]
	v_pk_add_f32 v[38:39], v[34:35], v[38:39]
	v_pk_add_f32 v[18:19], v[18:19], v[20:21] neg_lo:[0,1] neg_hi:[0,1]
	v_mov_b32_e32 v20, v22
	v_mov_b32_e32 v35, v31
	v_pk_add_f32 v[24:25], v[16:17], v[14:15]
	v_pk_add_f32 v[26:27], v[26:27], v[28:29] neg_lo:[0,1] neg_hi:[0,1]
	v_mov_b32_e32 v28, v5
	v_mov_b32_e32 v16, v17
	;; [unrolled: 1-line block ×3, first 2 shown]
	v_pk_add_f32 v[12:13], v[12:13], v[38:39]
	v_pk_add_f32 v[20:21], v[20:21], v[34:35] neg_lo:[0,1] neg_hi:[0,1]
	v_pk_add_f32 v[16:17], v[28:29], v[16:17] neg_lo:[0,1] neg_hi:[0,1]
	v_pk_add_f32 v[24:25], v[24:25], v[4:5]
	v_pk_mul_f32 v[18:19], v[18:19], s[12:13]
	v_pk_mul_f32 v[26:27], v[26:27], s[16:17]
	;; [unrolled: 1-line block ×3, first 2 shown]
	v_pk_mul_f32 v[32:33], v[24:25], s[0:1] op_sel_hi:[1,0]
	v_pk_mul_f32 v[34:35], v[16:17], s[14:15]
	v_pk_fma_f32 v[36:37], v[38:39], s[8:9], v[12:13] op_sel_hi:[1,0,1] neg_lo:[1,0,0] neg_hi:[1,0,0]
	v_pk_fma_f32 v[20:21], v[20:21], s[10:11], v[18:19]
	v_pk_fma_f32 v[16:17], v[16:17], s[14:15], v[26:27]
	v_pk_add_f32 v[20:21], v[20:21], v[36:37]
	v_pk_add_f32 v[16:17], v[32:33], v[16:17] op_sel:[1,0] op_sel_hi:[0,1]
	v_pk_add_f32 v[32:33], v[20:21], v[16:17]
	v_pk_add_f32 v[16:17], v[20:21], v[16:17] neg_lo:[0,1] neg_hi:[0,1]
	v_mov_b32_e32 v20, v32
	v_mov_b32_e32 v21, v17
	ds_write2_b64 v11, v[12:13], v[20:21] offset0:112 offset1:113
	v_pk_add_f32 v[12:13], v[30:31], v[22:23] neg_lo:[0,1] neg_hi:[0,1]
	v_pk_add_f32 v[4:5], v[14:15], v[4:5] neg_lo:[0,1] neg_hi:[0,1]
	v_mov_b32_e32 v14, v28
	v_mov_b32_e32 v15, v19
	;; [unrolled: 1-line block ×3, first 2 shown]
	v_pk_fma_f32 v[14:15], v[12:13], s[6:7], v[14:15] op_sel_hi:[1,0,1] neg_lo:[1,0,1] neg_hi:[1,0,1]
	v_mov_b32_e32 v20, v27
	v_mov_b32_e32 v21, v34
	v_pk_fma_f32 v[12:13], v[12:13], s[6:7], v[18:19] op_sel_hi:[1,0,1] neg_lo:[0,0,1] neg_hi:[0,0,1]
	v_mov_b32_e32 v18, v35
	v_mov_b32_e32 v19, v26
	v_pk_fma_f32 v[20:21], v[4:5], s[2:3], v[20:21] op_sel_hi:[1,0,1] neg_lo:[1,0,1] neg_hi:[1,0,1]
	v_pk_fma_f32 v[4:5], v[4:5], s[2:3], v[18:19] op_sel_hi:[1,0,1] neg_lo:[0,0,1] neg_hi:[0,0,1]
	v_pk_add_f32 v[14:15], v[14:15], v[36:37]
	v_pk_fma_f32 v[20:21], v[24:25], s[0:1], v[20:21] op_sel_hi:[1,0,1]
	v_pk_add_f32 v[12:13], v[12:13], v[36:37]
	v_pk_fma_f32 v[4:5], v[24:25], s[0:1], v[4:5] op_sel_hi:[1,0,1]
	v_pk_add_f32 v[22:23], v[14:15], v[20:21] op_sel:[0,1] op_sel_hi:[1,0]
	v_pk_add_f32 v[14:15], v[14:15], v[20:21] op_sel:[0,1] op_sel_hi:[1,0] neg_lo:[0,1] neg_hi:[0,1]
	v_pk_add_f32 v[18:19], v[12:13], v[4:5] op_sel:[0,1] op_sel_hi:[1,0] neg_lo:[0,1] neg_hi:[0,1]
	v_pk_add_f32 v[4:5], v[12:13], v[4:5] op_sel:[0,1] op_sel_hi:[1,0]
	v_mov_b32_e32 v12, v22
	v_mov_b32_e32 v13, v15
	;; [unrolled: 1-line block ×4, first 2 shown]
	ds_write2_b64 v11, v[12:13], v[20:21] offset0:114 offset1:115
	v_or_b32_e32 v13, 64, v2
	v_mov_b32_e32 v47, v51
	v_mov_b32_e32 v17, v33
	v_mul_lo_u16_e32 v48, 0x93, v13
	v_or_b32_e32 v50, 0x50, v2
	ds_write2_b64 v11, v[46:47], v[16:17] offset0:6 offset1:118
	v_lshrrev_b16_e32 v46, 10, v48
	v_mul_lo_u16_e32 v51, 0x93, v50
	v_mov_b32_e32 v5, v19
	v_mov_b32_e32 v15, v23
	v_mul_lo_u16_e32 v12, 7, v46
	v_lshrrev_b16_e32 v47, 10, v51
	ds_write2_b64 v11, v[4:5], v[14:15] offset0:116 offset1:117
	v_mov_b32_e32 v49, 3
	v_mul_lo_u16_e32 v4, 7, v47
	v_sub_u16_e32 v12, v13, v12
	v_sub_u16_e32 v4, v50, v4
	v_lshlrev_b32_sdwa v53, v49, v12 dst_sel:DWORD dst_unused:UNUSED_PAD src0_sel:DWORD src1_sel:BYTE_0
	v_or_b32_e32 v12, 48, v2
	v_lshlrev_b32_sdwa v52, v49, v4 dst_sel:DWORD dst_unused:UNUSED_PAD src0_sel:DWORD src1_sel:BYTE_0
	v_mul_lo_u16_e32 v54, 37, v12
	s_waitcnt lgkmcnt(0)
	; wave barrier
	s_waitcnt lgkmcnt(0)
	global_load_dwordx2 v[4:5], v52, s[4:5]
	global_load_dwordx2 v[22:23], v53, s[4:5]
	v_lshrrev_b16_e32 v55, 8, v54
	v_mul_lo_u16_e32 v14, 7, v55
	v_sub_u16_e32 v14, v12, v14
	v_lshlrev_b32_sdwa v56, v49, v14 dst_sel:DWORD dst_unused:UNUSED_PAD src0_sel:DWORD src1_sel:BYTE_0
	global_load_dwordx2 v[24:25], v56, s[4:5]
	v_mul_lo_u16_e32 v18, 37, v2
	v_lshrrev_b16_e32 v58, 8, v18
	v_mul_lo_u16_e32 v18, 7, v58
	v_sub_u16_e32 v26, v2, v18
	v_mul_lo_u16_e32 v18, 7, v63
	v_sub_u16_e32 v27, v61, v18
	;; [unrolled: 2-line block ×3, first 2 shown]
	v_lshlrev_b32_sdwa v67, v49, v18 dst_sel:DWORD dst_unused:UNUSED_PAD src0_sel:DWORD src1_sel:BYTE_0
	ds_read2_b64 v[18:21], v10 offset0:176 offset1:192
	v_lshlrev_b32_sdwa v69, v49, v27 dst_sel:DWORD dst_unused:UNUSED_PAD src0_sel:DWORD src1_sel:BYTE_0
	ds_read2_b64 v[14:17], v10 offset0:144 offset1:160
	v_lshlrev_b32_sdwa v68, v49, v26 dst_sel:DWORD dst_unused:UNUSED_PAD src0_sel:DWORD src1_sel:BYTE_0
	global_load_dwordx2 v[26:27], v67, s[4:5]
	global_load_dwordx2 v[28:29], v68, s[4:5]
	;; [unrolled: 1-line block ×3, first 2 shown]
	s_movk_i32 s0, 0x70
	s_movk_i32 s1, 0xffd0
	v_mad_i32_i24 v11, v2, s1, v11
	s_movk_i32 s2, 0x1c0
	s_waitcnt vmcnt(5) lgkmcnt(1)
	v_pk_mul_f32 v[30:31], v[20:21], v[4:5] op_sel:[0,1]
	s_nop 0
	v_pk_fma_f32 v[32:33], v[20:21], v[4:5], v[30:31] op_sel:[0,0,1] op_sel_hi:[1,1,0]
	v_pk_fma_f32 v[4:5], v[20:21], v[4:5], v[30:31] op_sel:[0,0,1] op_sel_hi:[1,0,0] neg_lo:[0,0,1] neg_hi:[0,0,1]
	s_waitcnt vmcnt(4)
	v_pk_mul_f32 v[20:21], v[18:19], v[22:23] op_sel:[0,1]
	v_mul_lo_u16_e32 v4, 7, v60
	v_sub_u16_e32 v4, v57, v4
	v_pk_fma_f32 v[30:31], v[18:19], v[22:23], v[20:21] op_sel:[0,0,1] op_sel_hi:[1,1,0]
	v_pk_fma_f32 v[18:19], v[18:19], v[22:23], v[20:21] op_sel:[0,0,1] op_sel_hi:[1,0,0] neg_lo:[0,0,1] neg_hi:[0,0,1]
	v_lshlrev_b32_sdwa v4, v49, v4 dst_sel:DWORD dst_unused:UNUSED_PAD src0_sel:DWORD src1_sel:BYTE_0
	s_waitcnt vmcnt(3) lgkmcnt(0)
	v_pk_mul_f32 v[20:21], v[24:25], v[16:17] op_sel:[0,1]
	v_mov_b32_e32 v33, v5
	v_pk_fma_f32 v[22:23], v[24:25], v[16:17], v[20:21] op_sel:[0,0,1] op_sel_hi:[1,1,0]
	v_pk_fma_f32 v[20:21], v[24:25], v[16:17], v[20:21] op_sel:[0,0,1] op_sel_hi:[1,0,0] neg_lo:[1,0,0] neg_hi:[1,0,0]
	global_load_dwordx2 v[24:25], v4, s[4:5]
	v_mov_b32_e32 v31, v19
	v_mov_b32_e32 v23, v21
	s_waitcnt vmcnt(1)
	v_pk_mul_f32 v[16:17], v[34:35], v[14:15] op_sel:[0,1]
	s_nop 0
	v_pk_fma_f32 v[36:37], v[34:35], v[14:15], v[16:17] op_sel:[0,0,1] op_sel_hi:[1,1,0]
	v_pk_fma_f32 v[34:35], v[34:35], v[14:15], v[16:17] op_sel:[0,0,1] op_sel_hi:[1,0,0] neg_lo:[1,0,0] neg_hi:[1,0,0]
	ds_read2_b64 v[14:17], v10 offset0:112 offset1:128
	v_mov_b32_e32 v37, v35
	s_waitcnt vmcnt(0) lgkmcnt(0)
	v_pk_mul_f32 v[38:39], v[24:25], v[16:17] op_sel:[0,1]
	s_nop 0
	v_pk_fma_f32 v[40:41], v[24:25], v[16:17], v[38:39] op_sel:[0,0,1] op_sel_hi:[1,1,0]
	v_pk_fma_f32 v[24:25], v[24:25], v[16:17], v[38:39] op_sel:[0,0,1] op_sel_hi:[1,0,0] neg_lo:[1,0,0] neg_hi:[1,0,0]
	v_pk_mul_f32 v[16:17], v[28:29], v[14:15] op_sel:[0,1]
	v_mov_b32_e32 v41, v25
	v_pk_fma_f32 v[38:39], v[28:29], v[14:15], v[16:17] op_sel:[0,0,1] op_sel_hi:[1,1,0]
	v_pk_fma_f32 v[28:29], v[28:29], v[14:15], v[16:17] op_sel:[0,0,1] op_sel_hi:[1,0,0] neg_lo:[1,0,0] neg_hi:[1,0,0]
	ds_read_b64 v[14:15], v10 offset:1664
	ds_read_b64 v[42:43], v7
	v_mov_b32_e32 v39, v29
	s_waitcnt lgkmcnt(1)
	v_pk_mul_f32 v[16:17], v[14:15], v[26:27] op_sel:[0,1]
	s_nop 0
	v_pk_fma_f32 v[44:45], v[14:15], v[26:27], v[16:17] op_sel:[0,0,1] op_sel_hi:[1,1,0]
	v_pk_fma_f32 v[14:15], v[14:15], v[26:27], v[16:17] op_sel:[0,0,1] op_sel_hi:[1,0,0] neg_lo:[0,0,1] neg_hi:[0,0,1]
	s_waitcnt lgkmcnt(0)
	v_pk_add_f32 v[28:29], v[42:43], v[38:39] neg_lo:[0,1] neg_hi:[0,1]
	v_mad_u32_u24 v14, v58, s0, 0
	v_add3_u32 v58, v14, v68, v9
	v_mad_u32_u24 v14, v60, s0, 0
	v_add3_u32 v60, v14, v4, v9
	v_mov_b32_e32 v45, v15
	ds_read2_b64 v[14:17], v11 offset0:80 offset1:96
	v_mad_u32_u24 v4, v63, s0, 0
	v_add3_u32 v63, v4, v69, v9
	v_mad_u32_u24 v4, v55, s0, 0
	v_add3_u32 v55, v4, v56, v9
	;; [unrolled: 2-line block ×4, first 2 shown]
	v_mad_u32_u24 v4, v66, s0, 0
	s_waitcnt lgkmcnt(0)
	v_pk_add_f32 v[26:27], v[16:17], v[44:45] neg_lo:[0,1] neg_hi:[0,1]
	v_pk_add_f32 v[32:33], v[14:15], v[32:33] neg_lo:[0,1] neg_hi:[0,1]
	v_add3_u32 v52, v4, v67, v9
	v_pk_fma_f32 v[4:5], v[16:17], 2.0, v[26:27] op_sel_hi:[1,0,1] neg_lo:[0,0,1] neg_hi:[0,0,1]
	v_pk_fma_f32 v[44:45], v[14:15], 2.0, v[32:33] op_sel_hi:[1,0,1] neg_lo:[0,0,1] neg_hi:[0,0,1]
	ds_read2_b64 v[14:17], v11 offset0:48 offset1:64
	v_lshrrev_b16_e32 v56, 11, v48
	v_lshrrev_b16_e32 v53, 9, v62
	v_cmp_gt_u32_e64 s[0:1], 14, v2
	s_waitcnt lgkmcnt(0)
	v_pk_add_f32 v[18:19], v[16:17], v[30:31] neg_lo:[0,1] neg_hi:[0,1]
	v_pk_add_f32 v[22:23], v[14:15], v[22:23] neg_lo:[0,1] neg_hi:[0,1]
	v_pk_fma_f32 v[20:21], v[16:17], 2.0, v[18:19] op_sel_hi:[1,0,1] neg_lo:[0,0,1] neg_hi:[0,0,1]
	v_pk_fma_f32 v[30:31], v[14:15], 2.0, v[22:23] op_sel_hi:[1,0,1] neg_lo:[0,0,1] neg_hi:[0,0,1]
	ds_read2_b64 v[14:17], v11 offset0:16 offset1:32
	s_waitcnt lgkmcnt(0)
	; wave barrier
	s_waitcnt lgkmcnt(0)
	v_pk_add_f32 v[34:35], v[16:17], v[36:37] neg_lo:[0,1] neg_hi:[0,1]
	v_pk_add_f32 v[24:25], v[14:15], v[40:41] neg_lo:[0,1] neg_hi:[0,1]
	v_pk_fma_f32 v[36:37], v[42:43], 2.0, v[28:29] op_sel_hi:[1,0,1] neg_lo:[0,0,1] neg_hi:[0,0,1]
	v_pk_fma_f32 v[16:17], v[16:17], 2.0, v[34:35] op_sel_hi:[1,0,1] neg_lo:[0,0,1] neg_hi:[0,0,1]
	;; [unrolled: 1-line block ×3, first 2 shown]
	ds_write2_b64 v58, v[36:37], v[28:29] offset1:7
	ds_write2_b64 v60, v[14:15], v[24:25] offset1:7
	;; [unrolled: 1-line block ×7, first 2 shown]
	v_lshrrev_b16_e32 v58, 11, v51
	v_mul_lo_u16_e32 v17, 14, v58
	v_lshrrev_b16_e32 v55, 9, v54
	v_mul_lo_u16_e32 v16, 14, v56
	v_sub_u16_e32 v17, v50, v17
	v_lshrrev_b16_e32 v52, 9, v59
	v_mul_lo_u16_e32 v15, 14, v55
	v_lshlrev_b32_sdwa v59, v49, v17 dst_sel:DWORD dst_unused:UNUSED_PAD src0_sel:DWORD src1_sel:BYTE_0
	v_sub_u16_e32 v16, v13, v16
	s_waitcnt lgkmcnt(0)
	; wave barrier
	s_waitcnt lgkmcnt(0)
	v_mul_lo_u16_e32 v14, 14, v53
	global_load_dwordx2 v[22:23], v59, s[4:5] offset:56
	v_lshlrev_b32_sdwa v60, v49, v16 dst_sel:DWORD dst_unused:UNUSED_PAD src0_sel:DWORD src1_sel:BYTE_0
	global_load_dwordx2 v[24:25], v60, s[4:5] offset:56
	v_sub_u16_e32 v15, v12, v15
	v_lshlrev_b32_sdwa v62, v49, v15 dst_sel:DWORD dst_unused:UNUSED_PAD src0_sel:DWORD src1_sel:BYTE_0
	v_sub_u16_e32 v14, v61, v14
	global_load_dwordx2 v[26:27], v62, s[4:5] offset:56
	v_lshlrev_b32_sdwa v61, v49, v14 dst_sel:DWORD dst_unused:UNUSED_PAD src0_sel:DWORD src1_sel:BYTE_0
	global_load_dwordx2 v[28:29], v61, s[4:5] offset:56
	v_lshrrev_b16_e32 v63, 11, v65
	v_mul_lo_u16_e32 v5, 14, v52
	v_mul_lo_u16_e32 v14, 14, v63
	v_add_u32_e32 v4, -14, v2
	v_sub_u16_e32 v5, v57, v5
	v_sub_u16_e32 v14, v64, v14
	v_cndmask_b32_e64 v4, v4, v2, s[0:1]
	v_lshlrev_b32_sdwa v66, v49, v14 dst_sel:DWORD dst_unused:UNUSED_PAD src0_sel:DWORD src1_sel:BYTE_0
	v_lshlrev_b32_sdwa v67, v49, v5 dst_sel:DWORD dst_unused:UNUSED_PAD src0_sel:DWORD src1_sel:BYTE_0
	v_mov_b32_e32 v5, 0
	global_load_dwordx2 v[30:31], v66, s[4:5] offset:56
	global_load_dwordx2 v[32:33], v67, s[4:5] offset:56
	v_lshl_add_u64 v[14:15], v[4:5], 3, s[4:5]
	global_load_dwordx2 v[34:35], v[14:15], off offset:56
	ds_read2_b64 v[14:17], v10 offset0:176 offset1:192
	ds_read2_b64 v[18:21], v10 offset0:144 offset1:160
	v_cmp_lt_u32_e64 s[0:1], 13, v2
	v_lshlrev_b32_e32 v4, 3, v4
	v_lshrrev_b16_e32 v51, 12, v51
	s_waitcnt vmcnt(6) lgkmcnt(1)
	v_pk_mul_f32 v[36:37], v[16:17], v[22:23] op_sel:[0,1]
	s_nop 0
	v_pk_fma_f32 v[38:39], v[16:17], v[22:23], v[36:37] op_sel:[0,0,1] op_sel_hi:[1,1,0]
	v_pk_fma_f32 v[22:23], v[16:17], v[22:23], v[36:37] op_sel:[0,0,1] op_sel_hi:[1,0,0] neg_lo:[0,0,1] neg_hi:[0,0,1]
	s_waitcnt vmcnt(5)
	v_pk_mul_f32 v[16:17], v[24:25], v[14:15] op_sel:[0,1]
	v_mov_b32_e32 v39, v23
	v_pk_fma_f32 v[36:37], v[24:25], v[14:15], v[16:17] op_sel:[0,0,1] op_sel_hi:[1,1,0]
	v_pk_fma_f32 v[24:25], v[24:25], v[14:15], v[16:17] op_sel:[0,0,1] op_sel_hi:[1,0,0] neg_lo:[1,0,0] neg_hi:[1,0,0]
	s_waitcnt vmcnt(4) lgkmcnt(0)
	v_pk_mul_f32 v[14:15], v[26:27], v[20:21] op_sel:[0,1]
	v_mov_b32_e32 v37, v25
	v_pk_fma_f32 v[40:41], v[26:27], v[20:21], v[14:15] op_sel:[0,0,1] op_sel_hi:[1,1,0]
	v_pk_fma_f32 v[20:21], v[26:27], v[20:21], v[14:15] op_sel:[0,0,1] op_sel_hi:[1,0,0] neg_lo:[1,0,0] neg_hi:[1,0,0]
	s_waitcnt vmcnt(3)
	v_pk_mul_f32 v[14:15], v[28:29], v[18:19] op_sel:[0,1]
	v_mov_b32_e32 v41, v21
	v_pk_fma_f32 v[26:27], v[28:29], v[18:19], v[14:15] op_sel:[0,0,1] op_sel_hi:[1,1,0]
	v_pk_fma_f32 v[18:19], v[28:29], v[18:19], v[14:15] op_sel:[0,0,1] op_sel_hi:[1,0,0] neg_lo:[1,0,0] neg_hi:[1,0,0]
	ds_read2_b64 v[14:17], v10 offset0:112 offset1:128
	v_mov_b32_e32 v27, v19
	s_waitcnt vmcnt(1) lgkmcnt(0)
	v_pk_mul_f32 v[28:29], v[32:33], v[16:17] op_sel:[0,1]
	s_nop 0
	v_pk_fma_f32 v[42:43], v[32:33], v[16:17], v[28:29] op_sel:[0,0,1] op_sel_hi:[1,1,0]
	v_pk_fma_f32 v[28:29], v[32:33], v[16:17], v[28:29] op_sel:[0,0,1] op_sel_hi:[1,0,0] neg_lo:[1,0,0] neg_hi:[1,0,0]
	s_waitcnt vmcnt(0)
	v_pk_mul_f32 v[16:17], v[34:35], v[14:15] op_sel:[0,1]
	v_mov_b32_e32 v43, v29
	v_pk_fma_f32 v[32:33], v[34:35], v[14:15], v[16:17] op_sel:[0,0,1] op_sel_hi:[1,1,0]
	v_pk_fma_f32 v[34:35], v[34:35], v[14:15], v[16:17] op_sel:[0,0,1] op_sel_hi:[1,0,0] neg_lo:[1,0,0] neg_hi:[1,0,0]
	ds_read_b64 v[14:15], v10 offset:1664
	ds_read_b64 v[44:45], v7
	v_mov_b32_e32 v33, v35
	s_waitcnt lgkmcnt(1)
	v_pk_mul_f32 v[16:17], v[14:15], v[30:31] op_sel:[0,1]
	s_nop 0
	v_pk_fma_f32 v[46:47], v[14:15], v[30:31], v[16:17] op_sel:[0,0,1] op_sel_hi:[1,1,0]
	v_pk_fma_f32 v[14:15], v[14:15], v[30:31], v[16:17] op_sel:[0,0,1] op_sel_hi:[1,0,0] neg_lo:[0,0,1] neg_hi:[0,0,1]
	s_waitcnt lgkmcnt(0)
	v_pk_add_f32 v[28:29], v[44:45], v[32:33] neg_lo:[0,1] neg_hi:[0,1]
	v_mov_b32_e32 v14, 0xe0
	v_cndmask_b32_e64 v14, 0, v14, s[0:1]
	v_add_u32_e32 v14, 0, v14
	s_movk_i32 s0, 0xe0
	v_add3_u32 v4, v14, v4, v9
	v_mad_u32_u24 v14, v52, s0, 0
	v_add3_u32 v34, v14, v67, v9
	v_mad_u32_u24 v14, v53, s0, 0
	;; [unrolled: 2-line block ×5, first 2 shown]
	v_add3_u32 v56, v14, v59, v9
	v_mov_b32_e32 v47, v15
	ds_read2_b64 v[14:17], v11 offset0:80 offset1:96
	v_mad_u32_u24 v18, v63, s0, 0
	v_add3_u32 v58, v18, v66, v9
	v_pk_fma_f32 v[32:33], v[44:45], 2.0, v[28:29] op_sel_hi:[1,0,1] neg_lo:[0,0,1] neg_hi:[0,0,1]
	v_cmp_gt_u32_e64 s[0:1], 28, v57
	s_waitcnt lgkmcnt(0)
	v_pk_add_f32 v[30:31], v[16:17], v[46:47] neg_lo:[0,1] neg_hi:[0,1]
	v_pk_add_f32 v[38:39], v[14:15], v[38:39] neg_lo:[0,1] neg_hi:[0,1]
	v_pk_fma_f32 v[22:23], v[16:17], 2.0, v[30:31] op_sel_hi:[1,0,1] neg_lo:[0,0,1] neg_hi:[0,0,1]
	v_pk_fma_f32 v[46:47], v[14:15], 2.0, v[38:39] op_sel_hi:[1,0,1] neg_lo:[0,0,1] neg_hi:[0,0,1]
	ds_read2_b64 v[14:17], v11 offset0:48 offset1:64
	s_waitcnt lgkmcnt(0)
	v_pk_add_f32 v[24:25], v[16:17], v[36:37] neg_lo:[0,1] neg_hi:[0,1]
	v_pk_add_f32 v[36:37], v[14:15], v[40:41] neg_lo:[0,1] neg_hi:[0,1]
	v_pk_fma_f32 v[20:21], v[16:17], 2.0, v[24:25] op_sel_hi:[1,0,1] neg_lo:[0,0,1] neg_hi:[0,0,1]
	v_pk_fma_f32 v[40:41], v[14:15], 2.0, v[36:37] op_sel_hi:[1,0,1] neg_lo:[0,0,1] neg_hi:[0,0,1]
	ds_read2_b64 v[14:17], v11 offset0:16 offset1:32
	s_waitcnt lgkmcnt(0)
	; wave barrier
	s_waitcnt lgkmcnt(0)
	v_pk_add_f32 v[18:19], v[16:17], v[26:27] neg_lo:[0,1] neg_hi:[0,1]
	v_pk_add_f32 v[26:27], v[14:15], v[42:43] neg_lo:[0,1] neg_hi:[0,1]
	v_pk_fma_f32 v[16:17], v[16:17], 2.0, v[18:19] op_sel_hi:[1,0,1] neg_lo:[0,0,1] neg_hi:[0,0,1]
	v_pk_fma_f32 v[14:15], v[14:15], 2.0, v[26:27] op_sel_hi:[1,0,1] neg_lo:[0,0,1] neg_hi:[0,0,1]
	ds_write2_b64 v4, v[32:33], v[28:29] offset1:14
	ds_write2_b64 v34, v[14:15], v[26:27] offset1:14
	;; [unrolled: 1-line block ×7, first 2 shown]
	s_waitcnt lgkmcnt(0)
	; wave barrier
	s_waitcnt lgkmcnt(0)
	global_load_dwordx2 v[26:27], v6, s[4:5] offset:168
	global_load_dwordx2 v[30:31], v8, s[4:5] offset:200
	v_mul_lo_u16_e32 v4, 28, v51
	v_lshrrev_b16_e32 v14, 12, v65
	v_mul_lo_u16_e32 v14, 28, v14
	v_sub_u16_e32 v4, v50, v4
	v_sub_u16_e32 v14, v64, v14
	v_lshlrev_b32_sdwa v50, v49, v4 dst_sel:DWORD dst_unused:UNUSED_PAD src0_sel:DWORD src1_sel:BYTE_0
	v_lshrrev_b16_e32 v4, 12, v48
	v_lshlrev_b32_sdwa v52, v49, v14 dst_sel:DWORD dst_unused:UNUSED_PAD src0_sel:DWORD src1_sel:BYTE_0
	v_mul_lo_u16_e32 v4, 28, v4
	global_load_dwordx2 v[32:33], v52, s[4:5] offset:168
	global_load_dwordx2 v[34:35], v50, s[4:5] offset:168
	v_sub_u16_e32 v4, v13, v4
	v_lshlrev_b32_sdwa v13, v49, v4 dst_sel:DWORD dst_unused:UNUSED_PAD src0_sel:DWORD src1_sel:BYTE_0
	global_load_dwordx2 v[36:37], v13, s[4:5] offset:168
	v_lshrrev_b16_e32 v48, 10, v54
	v_mul_lo_u16_e32 v4, 28, v48
	v_sub_u16_e32 v4, v12, v4
	v_lshlrev_b32_sdwa v49, v49, v4 dst_sel:DWORD dst_unused:UNUSED_PAD src0_sel:DWORD src1_sel:BYTE_0
	global_load_dwordx2 v[38:39], v49, s[4:5] offset:168
	v_add_u32_e32 v4, -12, v2
	v_cndmask_b32_e64 v4, v4, v57, s[0:1]
	v_lshl_add_u64 v[14:15], v[4:5], 3, s[4:5]
	global_load_dwordx2 v[40:41], v[14:15], off offset:168
	ds_read2_b64 v[14:17], v10 offset0:112 offset1:128
	ds_read2_b64 v[18:21], v10 offset0:144 offset1:160
	;; [unrolled: 1-line block ×3, first 2 shown]
	ds_read_b64 v[28:29], v7
	v_cmp_lt_u32_e64 s[0:1], 27, v57
	v_lshlrev_b32_e32 v4, 3, v4
	v_add3_u32 v13, 0, v13, v9
	v_add3_u32 v52, 0, v52, v9
	s_waitcnt vmcnt(6) lgkmcnt(3)
	v_pk_mul_f32 v[42:43], v[26:27], v[14:15] op_sel:[0,1]
	s_nop 0
	v_pk_fma_f32 v[44:45], v[26:27], v[14:15], v[42:43] op_sel:[0,0,1] op_sel_hi:[1,1,0]
	v_pk_fma_f32 v[14:15], v[26:27], v[14:15], v[42:43] op_sel:[0,0,1] op_sel_hi:[1,0,0] neg_lo:[1,0,0] neg_hi:[1,0,0]
	v_mov_b32_e32 v26, 0x1c0
	v_mov_b32_e32 v45, v15
	v_cndmask_b32_e64 v26, 0, v26, s[0:1]
	s_waitcnt lgkmcnt(0)
	v_pk_add_f32 v[14:15], v[28:29], v[44:45] neg_lo:[0,1] neg_hi:[0,1]
	v_add_u32_e32 v26, 0, v26
	v_pk_fma_f32 v[42:43], v[28:29], 2.0, v[14:15] op_sel_hi:[1,0,1] neg_lo:[0,0,1] neg_hi:[0,0,1]
	v_add3_u32 v4, v26, v4, v9
	ds_read2_b64 v[26:29], v11 offset0:16 offset1:32
	s_waitcnt vmcnt(5)
	v_pk_mul_f32 v[44:45], v[30:31], v[18:19] op_sel:[0,1]
	v_cmp_gt_u32_e64 s[0:1], 56, v12
	v_pk_fma_f32 v[46:47], v[30:31], v[18:19], v[44:45] op_sel:[0,0,1] op_sel_hi:[1,1,0]
	v_pk_fma_f32 v[18:19], v[30:31], v[18:19], v[44:45] op_sel:[0,0,1] op_sel_hi:[1,0,0] neg_lo:[1,0,0] neg_hi:[1,0,0]
	s_nop 0
	v_mov_b32_e32 v47, v19
	s_waitcnt lgkmcnt(0)
	v_pk_add_f32 v[18:19], v[28:29], v[46:47] neg_lo:[0,1] neg_hi:[0,1]
	ds_read_b64 v[46:47], v10 offset:1664
	v_pk_fma_f32 v[44:45], v[28:29], 2.0, v[18:19] op_sel_hi:[1,0,1] neg_lo:[0,0,1] neg_hi:[0,0,1]
	v_mad_u32_u24 v28, v48, s2, 0
	v_add3_u32 v53, v28, v49, v9
	v_mad_u32_u24 v28, v51, s2, 0
	s_waitcnt vmcnt(4) lgkmcnt(0)
	v_pk_mul_f32 v[48:49], v[46:47], v[32:33] op_sel:[0,1]
	v_add3_u32 v54, v28, v50, v9
	v_pk_fma_f32 v[50:51], v[46:47], v[32:33], v[48:49] op_sel:[0,0,1] op_sel_hi:[1,1,0]
	v_pk_fma_f32 v[32:33], v[46:47], v[32:33], v[48:49] op_sel:[0,0,1] op_sel_hi:[1,0,0] neg_lo:[0,0,1] neg_hi:[0,0,1]
	s_waitcnt vmcnt(3)
	v_pk_mul_f32 v[46:47], v[24:25], v[34:35] op_sel:[0,1]
	ds_read2_b64 v[28:31], v11 offset0:80 offset1:96
	v_pk_fma_f32 v[48:49], v[24:25], v[34:35], v[46:47] op_sel:[0,0,1] op_sel_hi:[1,1,0]
	v_pk_fma_f32 v[34:35], v[24:25], v[34:35], v[46:47] op_sel:[0,0,1] op_sel_hi:[1,0,0] neg_lo:[0,0,1] neg_hi:[0,0,1]
	s_waitcnt vmcnt(2)
	v_pk_mul_f32 v[24:25], v[36:37], v[22:23] op_sel:[0,1]
	v_mov_b32_e32 v49, v35
	v_pk_fma_f32 v[46:47], v[36:37], v[22:23], v[24:25] op_sel:[0,0,1] op_sel_hi:[1,1,0]
	v_pk_fma_f32 v[36:37], v[36:37], v[22:23], v[24:25] op_sel:[0,0,1] op_sel_hi:[1,0,0] neg_lo:[1,0,0] neg_hi:[1,0,0]
	ds_read2_b64 v[22:25], v11 offset0:48 offset1:64
	v_mov_b32_e32 v47, v37
	s_waitcnt lgkmcnt(1)
	v_pk_add_f32 v[34:35], v[28:29], v[48:49] neg_lo:[0,1] neg_hi:[0,1]
	v_mov_b32_e32 v51, v33
	v_pk_add_f32 v[32:33], v[30:31], v[50:51] neg_lo:[0,1] neg_hi:[0,1]
	s_waitcnt lgkmcnt(0)
	v_pk_add_f32 v[36:37], v[24:25], v[46:47] neg_lo:[0,1] neg_hi:[0,1]
	s_waitcnt vmcnt(1)
	v_pk_mul_f32 v[46:47], v[38:39], v[20:21] op_sel:[0,1]
	v_pk_fma_f32 v[30:31], v[30:31], 2.0, v[32:33] op_sel_hi:[1,0,1] neg_lo:[0,0,1] neg_hi:[0,0,1]
	v_pk_fma_f32 v[48:49], v[38:39], v[20:21], v[46:47] op_sel:[0,0,1] op_sel_hi:[1,1,0]
	v_pk_fma_f32 v[20:21], v[38:39], v[20:21], v[46:47] op_sel:[0,0,1] op_sel_hi:[1,0,0] neg_lo:[1,0,0] neg_hi:[1,0,0]
	s_waitcnt vmcnt(0)
	v_pk_mul_f32 v[38:39], v[40:41], v[16:17] op_sel:[0,1]
	v_mov_b32_e32 v49, v21
	v_pk_fma_f32 v[46:47], v[40:41], v[16:17], v[38:39] op_sel:[0,0,1] op_sel_hi:[1,1,0]
	v_pk_fma_f32 v[16:17], v[40:41], v[16:17], v[38:39] op_sel:[0,0,1] op_sel_hi:[1,0,0] neg_lo:[1,0,0] neg_hi:[1,0,0]
	v_pk_add_f32 v[20:21], v[22:23], v[48:49] neg_lo:[0,1] neg_hi:[0,1]
	v_mov_b32_e32 v47, v17
	v_pk_add_f32 v[16:17], v[26:27], v[46:47] neg_lo:[0,1] neg_hi:[0,1]
	v_pk_fma_f32 v[28:29], v[28:29], 2.0, v[34:35] op_sel_hi:[1,0,1] neg_lo:[0,0,1] neg_hi:[0,0,1]
	v_pk_fma_f32 v[26:27], v[26:27], 2.0, v[16:17] op_sel_hi:[1,0,1] neg_lo:[0,0,1] neg_hi:[0,0,1]
	;; [unrolled: 1-line block ×4, first 2 shown]
	s_waitcnt lgkmcnt(0)
	; wave barrier
	ds_write2_b64 v10, v[42:43], v[14:15] offset1:28
	ds_write2_b64 v4, v[26:27], v[16:17] offset1:28
	ds_write2_b64 v10, v[44:45], v[18:19] offset0:60 offset1:88
	ds_write2_b64 v53, v[22:23], v[20:21] offset1:28
	ds_write2_b64 v13, v[24:25], v[36:37] offset0:112 offset1:140
	;; [unrolled: 2-line block ×3, first 2 shown]
	s_waitcnt lgkmcnt(0)
	; wave barrier
	s_waitcnt lgkmcnt(0)
	global_load_dwordx2 v[26:27], v6, s[4:5] offset:392
	global_load_dwordx2 v[30:31], v8, s[4:5] offset:648
	global_load_dwordx2 v[32:33], v8, s[4:5] offset:520
	global_load_dwordx2 v[34:35], v8, s[4:5] offset:456
	global_load_dwordx2 v[36:37], v8, s[4:5] offset:584
	global_load_dwordx2 v[38:39], v8, s[4:5] offset:712
	v_add_u32_e32 v4, -8, v2
	v_cndmask_b32_e64 v4, v4, v12, s[0:1]
	v_lshl_add_u64 v[14:15], v[4:5], 3, s[4:5]
	global_load_dwordx2 v[40:41], v[14:15], off offset:392
	ds_read2_b64 v[14:17], v10 offset0:112 offset1:128
	ds_read2_b64 v[18:21], v10 offset0:144 offset1:160
	;; [unrolled: 1-line block ×3, first 2 shown]
	ds_read_b64 v[28:29], v7
	v_mov_b32_e32 v13, 0x380
	v_cmp_lt_u32_e64 s[0:1], 55, v12
	v_lshlrev_b32_e32 v4, 3, v4
	ds_read_b64 v[48:49], v10 offset:1664
	v_cndmask_b32_e64 v12, 0, v13, s[0:1]
	v_add_u32_e32 v12, 0, v12
	v_add3_u32 v4, v12, v4, v9
	s_waitcnt vmcnt(6) lgkmcnt(4)
	v_pk_mul_f32 v[42:43], v[26:27], v[14:15] op_sel:[0,1]
	s_nop 0
	v_pk_fma_f32 v[44:45], v[26:27], v[14:15], v[42:43] op_sel:[0,0,1] op_sel_hi:[1,1,0]
	v_pk_fma_f32 v[14:15], v[26:27], v[14:15], v[42:43] op_sel:[0,0,1] op_sel_hi:[1,0,0] neg_lo:[1,0,0] neg_hi:[1,0,0]
	s_nop 0
	v_mov_b32_e32 v45, v15
	s_waitcnt lgkmcnt(1)
	v_pk_add_f32 v[42:43], v[28:29], v[44:45] neg_lo:[0,1] neg_hi:[0,1]
	s_waitcnt vmcnt(4)
	v_pk_mul_f32 v[14:15], v[32:33], v[16:17] op_sel:[0,1]
	v_pk_fma_f32 v[44:45], v[28:29], 2.0, v[42:43] op_sel_hi:[1,0,1] neg_lo:[0,0,1] neg_hi:[0,0,1]
	ds_read2_b64 v[26:29], v11 offset0:16 offset1:32
	v_pk_fma_f32 v[46:47], v[32:33], v[16:17], v[14:15] op_sel:[0,0,1] op_sel_hi:[1,1,0]
	v_pk_fma_f32 v[14:15], v[32:33], v[16:17], v[14:15] op_sel:[0,0,1] op_sel_hi:[1,0,0] neg_lo:[1,0,0] neg_hi:[1,0,0]
	s_nop 0
	v_mov_b32_e32 v47, v15
	v_pk_mul_f32 v[14:15], v[30:31], v[18:19] op_sel:[0,1]
	s_waitcnt lgkmcnt(0)
	v_pk_add_f32 v[32:33], v[26:27], v[46:47] neg_lo:[0,1] neg_hi:[0,1]
	v_pk_fma_f32 v[16:17], v[30:31], v[18:19], v[14:15] op_sel:[0,0,1] op_sel_hi:[1,1,0]
	v_pk_fma_f32 v[14:15], v[30:31], v[18:19], v[14:15] op_sel:[0,0,1] op_sel_hi:[1,0,0] neg_lo:[1,0,0] neg_hi:[1,0,0]
	v_pk_fma_f32 v[26:27], v[26:27], 2.0, v[32:33] op_sel_hi:[1,0,1] neg_lo:[0,0,1] neg_hi:[0,0,1]
	v_mov_b32_e32 v17, v15
	ds_read2_b64 v[12:15], v11 offset0:48 offset1:64
	v_pk_add_f32 v[18:19], v[28:29], v[16:17] neg_lo:[0,1] neg_hi:[0,1]
	s_waitcnt vmcnt(3)
	v_pk_mul_f32 v[16:17], v[34:35], v[22:23] op_sel:[0,1]
	v_pk_fma_f32 v[28:29], v[28:29], 2.0, v[18:19] op_sel_hi:[1,0,1] neg_lo:[0,0,1] neg_hi:[0,0,1]
	v_pk_fma_f32 v[30:31], v[34:35], v[22:23], v[16:17] op_sel:[0,0,1] op_sel_hi:[1,1,0]
	v_pk_fma_f32 v[16:17], v[34:35], v[22:23], v[16:17] op_sel:[0,0,1] op_sel_hi:[1,0,0] neg_lo:[1,0,0] neg_hi:[1,0,0]
	s_waitcnt vmcnt(2)
	v_pk_mul_f32 v[34:35], v[24:25], v[36:37] op_sel:[0,1]
	v_mov_b32_e32 v31, v17
	s_waitcnt lgkmcnt(0)
	v_pk_add_f32 v[22:23], v[14:15], v[30:31] neg_lo:[0,1] neg_hi:[0,1]
	v_pk_fma_f32 v[46:47], v[24:25], v[36:37], v[34:35] op_sel:[0,0,1] op_sel_hi:[1,1,0]
	v_pk_fma_f32 v[30:31], v[14:15], 2.0, v[22:23] op_sel_hi:[1,0,1] neg_lo:[0,0,1] neg_hi:[0,0,1]
	ds_read2_b64 v[14:17], v11 offset0:80 offset1:96
	v_pk_fma_f32 v[24:25], v[24:25], v[36:37], v[34:35] op_sel:[0,0,1] op_sel_hi:[1,0,0] neg_lo:[0,0,1] neg_hi:[0,0,1]
	s_waitcnt vmcnt(1)
	v_pk_mul_f32 v[34:35], v[48:49], v[38:39] op_sel:[0,1]
	v_mov_b32_e32 v47, v25
	v_pk_fma_f32 v[36:37], v[48:49], v[38:39], v[34:35] op_sel:[0,0,1] op_sel_hi:[1,1,0]
	v_pk_fma_f32 v[34:35], v[48:49], v[38:39], v[34:35] op_sel:[0,0,1] op_sel_hi:[1,0,0] neg_lo:[0,0,1] neg_hi:[0,0,1]
	s_waitcnt lgkmcnt(0)
	v_pk_add_f32 v[24:25], v[14:15], v[46:47] neg_lo:[0,1] neg_hi:[0,1]
	v_mov_b32_e32 v37, v35
	v_pk_add_f32 v[34:35], v[16:17], v[36:37] neg_lo:[0,1] neg_hi:[0,1]
	s_waitcnt vmcnt(0)
	v_pk_mul_f32 v[36:37], v[40:41], v[20:21] op_sel:[0,1]
	v_pk_fma_f32 v[14:15], v[14:15], 2.0, v[24:25] op_sel_hi:[1,0,1] neg_lo:[0,0,1] neg_hi:[0,0,1]
	v_pk_fma_f32 v[38:39], v[40:41], v[20:21], v[36:37] op_sel:[0,0,1] op_sel_hi:[1,1,0]
	v_pk_fma_f32 v[20:21], v[40:41], v[20:21], v[36:37] op_sel:[0,0,1] op_sel_hi:[1,0,0] neg_lo:[1,0,0] neg_hi:[1,0,0]
	v_pk_fma_f32 v[16:17], v[16:17], 2.0, v[34:35] op_sel_hi:[1,0,1] neg_lo:[0,0,1] neg_hi:[0,0,1]
	v_mov_b32_e32 v39, v21
	v_pk_add_f32 v[20:21], v[12:13], v[38:39] neg_lo:[0,1] neg_hi:[0,1]
	s_nop 0
	v_pk_fma_f32 v[12:13], v[12:13], 2.0, v[20:21] op_sel_hi:[1,0,1] neg_lo:[0,0,1] neg_hi:[0,0,1]
	; wave barrier
	ds_write2_b64 v10, v[44:45], v[42:43] offset1:56
	ds_write2_b64 v11, v[26:27], v[28:29] offset0:16 offset1:32
	ds_write2_b64 v11, v[32:33], v[18:19] offset0:72 offset1:88
	ds_write2_b64 v4, v[12:13], v[20:21] offset1:56
	ds_write2_b64 v10, v[30:31], v[14:15] offset0:120 offset1:136
	ds_write2_b64 v10, v[16:17], v[22:23] offset0:152 offset1:176
	;; [unrolled: 1-line block ×3, first 2 shown]
	s_waitcnt lgkmcnt(0)
	; wave barrier
	s_waitcnt lgkmcnt(0)
	global_load_dwordx2 v[24:25], v6, s[4:5] offset:840
	global_load_dwordx2 v[26:27], v8, s[4:5] offset:968
	global_load_dwordx2 v[28:29], v8, s[4:5] offset:1096
	global_load_dwordx2 v[30:31], v8, s[4:5] offset:1224
	global_load_dwordx2 v[32:33], v8, s[4:5] offset:1352
	global_load_dwordx2 v[34:35], v8, s[4:5] offset:1480
	global_load_dwordx2 v[36:37], v8, s[4:5] offset:1608
	ds_read2_b64 v[12:15], v10 offset0:112 offset1:128
	ds_read2_b64 v[16:19], v10 offset0:144 offset1:160
	;; [unrolled: 1-line block ×3, first 2 shown]
	ds_read_b64 v[6:7], v7
	ds_read_b64 v[42:43], v10 offset:1664
	s_waitcnt vmcnt(6) lgkmcnt(4)
	v_pk_mul_f32 v[8:9], v[24:25], v[12:13] op_sel:[0,1]
	s_nop 0
	v_pk_fma_f32 v[38:39], v[24:25], v[12:13], v[8:9] op_sel:[0,0,1] op_sel_hi:[1,1,0]
	v_pk_fma_f32 v[8:9], v[24:25], v[12:13], v[8:9] op_sel:[0,0,1] op_sel_hi:[1,0,0] neg_lo:[1,0,0] neg_hi:[1,0,0]
	s_nop 0
	v_mov_b32_e32 v39, v9
	s_waitcnt lgkmcnt(1)
	v_pk_add_f32 v[12:13], v[6:7], v[38:39] neg_lo:[0,1] neg_hi:[0,1]
	s_waitcnt vmcnt(5)
	v_pk_mul_f32 v[38:39], v[26:27], v[14:15] op_sel:[0,1]
	v_pk_fma_f32 v[24:25], v[6:7], 2.0, v[12:13] op_sel_hi:[1,0,1] neg_lo:[0,0,1] neg_hi:[0,0,1]
	ds_read2_b64 v[6:9], v11 offset0:16 offset1:32
	v_pk_fma_f32 v[40:41], v[26:27], v[14:15], v[38:39] op_sel:[0,0,1] op_sel_hi:[1,1,0]
	v_pk_fma_f32 v[14:15], v[26:27], v[14:15], v[38:39] op_sel:[0,0,1] op_sel_hi:[1,0,0] neg_lo:[1,0,0] neg_hi:[1,0,0]
	s_nop 0
	v_mov_b32_e32 v41, v15
	s_waitcnt lgkmcnt(0)
	v_pk_add_f32 v[14:15], v[6:7], v[40:41] neg_lo:[0,1] neg_hi:[0,1]
	s_nop 0
	v_pk_fma_f32 v[26:27], v[6:7], 2.0, v[14:15] op_sel_hi:[1,0,1] neg_lo:[0,0,1] neg_hi:[0,0,1]
	s_waitcnt vmcnt(4)
	v_pk_mul_f32 v[6:7], v[28:29], v[16:17] op_sel:[0,1]
	s_nop 0
	v_pk_fma_f32 v[38:39], v[28:29], v[16:17], v[6:7] op_sel:[0,0,1] op_sel_hi:[1,1,0]
	v_pk_fma_f32 v[6:7], v[28:29], v[16:17], v[6:7] op_sel:[0,0,1] op_sel_hi:[1,0,0] neg_lo:[1,0,0] neg_hi:[1,0,0]
	s_nop 0
	v_mov_b32_e32 v39, v7
	v_pk_add_f32 v[16:17], v[8:9], v[38:39] neg_lo:[0,1] neg_hi:[0,1]
	s_waitcnt vmcnt(3)
	v_pk_mul_f32 v[38:39], v[30:31], v[18:19] op_sel:[0,1]
	v_pk_fma_f32 v[28:29], v[8:9], 2.0, v[16:17] op_sel_hi:[1,0,1] neg_lo:[0,0,1] neg_hi:[0,0,1]
	ds_read2_b64 v[6:9], v11 offset0:48 offset1:64
	v_pk_fma_f32 v[40:41], v[30:31], v[18:19], v[38:39] op_sel:[0,0,1] op_sel_hi:[1,1,0]
	v_pk_fma_f32 v[18:19], v[30:31], v[18:19], v[38:39] op_sel:[0,0,1] op_sel_hi:[1,0,0] neg_lo:[1,0,0] neg_hi:[1,0,0]
	s_nop 0
	v_mov_b32_e32 v41, v19
	s_waitcnt lgkmcnt(0)
	v_pk_add_f32 v[18:19], v[6:7], v[40:41] neg_lo:[0,1] neg_hi:[0,1]
	s_nop 0
	v_pk_fma_f32 v[30:31], v[6:7], 2.0, v[18:19] op_sel_hi:[1,0,1] neg_lo:[0,0,1] neg_hi:[0,0,1]
	s_waitcnt vmcnt(2)
	v_pk_mul_f32 v[6:7], v[32:33], v[20:21] op_sel:[0,1]
	s_nop 0
	v_pk_fma_f32 v[38:39], v[32:33], v[20:21], v[6:7] op_sel:[0,0,1] op_sel_hi:[1,1,0]
	v_pk_fma_f32 v[6:7], v[32:33], v[20:21], v[6:7] op_sel:[0,0,1] op_sel_hi:[1,0,0] neg_lo:[1,0,0] neg_hi:[1,0,0]
	s_nop 0
	v_mov_b32_e32 v39, v7
	v_pk_add_f32 v[20:21], v[8:9], v[38:39] neg_lo:[0,1] neg_hi:[0,1]
	s_waitcnt vmcnt(1)
	v_pk_mul_f32 v[38:39], v[22:23], v[34:35] op_sel:[0,1]
	v_pk_fma_f32 v[32:33], v[8:9], 2.0, v[20:21] op_sel_hi:[1,0,1] neg_lo:[0,0,1] neg_hi:[0,0,1]
	ds_read2_b64 v[6:9], v11 offset0:80 offset1:96
	v_pk_fma_f32 v[40:41], v[22:23], v[34:35], v[38:39] op_sel:[0,0,1] op_sel_hi:[1,1,0]
	v_pk_fma_f32 v[22:23], v[22:23], v[34:35], v[38:39] op_sel:[0,0,1] op_sel_hi:[1,0,0] neg_lo:[0,0,1] neg_hi:[0,0,1]
	s_waitcnt vmcnt(0)
	v_pk_mul_f32 v[34:35], v[42:43], v[36:37] op_sel:[0,1]
	v_mov_b32_e32 v41, v23
	v_pk_fma_f32 v[38:39], v[42:43], v[36:37], v[34:35] op_sel:[0,0,1] op_sel_hi:[1,1,0]
	v_pk_fma_f32 v[34:35], v[42:43], v[36:37], v[34:35] op_sel:[0,0,1] op_sel_hi:[1,0,0] neg_lo:[0,0,1] neg_hi:[0,0,1]
	s_waitcnt lgkmcnt(0)
	v_pk_add_f32 v[22:23], v[6:7], v[40:41] neg_lo:[0,1] neg_hi:[0,1]
	v_mov_b32_e32 v39, v35
	v_pk_add_f32 v[34:35], v[8:9], v[38:39] neg_lo:[0,1] neg_hi:[0,1]
	v_pk_fma_f32 v[6:7], v[6:7], 2.0, v[22:23] op_sel_hi:[1,0,1] neg_lo:[0,0,1] neg_hi:[0,0,1]
	v_pk_fma_f32 v[8:9], v[8:9], 2.0, v[34:35] op_sel_hi:[1,0,1] neg_lo:[0,0,1] neg_hi:[0,0,1]
	s_waitcnt lgkmcnt(0)
	; wave barrier
	ds_write2_b64 v10, v[24:25], v[12:13] offset1:112
	ds_write2_b64 v11, v[26:27], v[28:29] offset0:16 offset1:32
	ds_write2_b64 v11, v[14:15], v[16:17] offset0:128 offset1:144
	;; [unrolled: 1-line block ×6, first 2 shown]
	s_waitcnt lgkmcnt(0)
	; wave barrier
	s_waitcnt lgkmcnt(0)
	s_and_saveexec_b64 s[0:1], vcc
	s_cbranch_execz .LBB0_19
; %bb.18:
	v_lshl_add_u32 v16, v2, 3, v3
	ds_read2_b64 v[6:9], v16 offset1:16
	ds_read2_b64 v[10:13], v16 offset0:32 offset1:48
	v_mov_b32_e32 v3, v5
	v_add_u32_e32 v4, 16, v2
	v_lshl_add_u64 v[14:15], v[2:3], 3, v[0:1]
	s_waitcnt lgkmcnt(1)
	global_store_dwordx2 v[14:15], v[6:7], off
	v_lshl_add_u64 v[6:7], v[4:5], 3, v[0:1]
	v_add_u32_e32 v4, 32, v2
	global_store_dwordx2 v[6:7], v[8:9], off
	v_lshl_add_u64 v[6:7], v[4:5], 3, v[0:1]
	s_waitcnt lgkmcnt(0)
	global_store_dwordx2 v[6:7], v[10:11], off
	ds_read2_b64 v[6:9], v16 offset0:64 offset1:80
	v_add_u32_e32 v4, 48, v2
	v_lshl_add_u64 v[10:11], v[4:5], 3, v[0:1]
	v_add_u32_e32 v4, 64, v2
	global_store_dwordx2 v[10:11], v[12:13], off
	v_lshl_add_u64 v[10:11], v[4:5], 3, v[0:1]
	s_waitcnt lgkmcnt(0)
	global_store_dwordx2 v[10:11], v[6:7], off
	ds_read2_b64 v[10:13], v16 offset0:96 offset1:112
	v_add_u32_e32 v4, 0x50, v2
	;; [unrolled: 8-line block ×5, first 2 shown]
	v_lshl_add_u64 v[10:11], v[4:5], 3, v[0:1]
	v_add_u32_e32 v4, 0xc0, v2
	global_store_dwordx2 v[10:11], v[12:13], off
	v_lshl_add_u64 v[10:11], v[4:5], 3, v[0:1]
	v_add_u32_e32 v4, 0xd0, v2
	v_lshl_add_u64 v[0:1], v[4:5], 3, v[0:1]
	s_waitcnt lgkmcnt(0)
	global_store_dwordx2 v[10:11], v[6:7], off
	global_store_dwordx2 v[0:1], v[8:9], off
.LBB0_19:
	s_endpgm
	.section	.rodata,"a",@progbits
	.p2align	6, 0x0
	.amdhsa_kernel fft_rtc_back_len224_factors_7_2_2_2_2_2_wgs_64_tpt_16_halfLds_sp_ip_CI_unitstride_sbrr_C2R_dirReg
		.amdhsa_group_segment_fixed_size 0
		.amdhsa_private_segment_fixed_size 0
		.amdhsa_kernarg_size 88
		.amdhsa_user_sgpr_count 2
		.amdhsa_user_sgpr_dispatch_ptr 0
		.amdhsa_user_sgpr_queue_ptr 0
		.amdhsa_user_sgpr_kernarg_segment_ptr 1
		.amdhsa_user_sgpr_dispatch_id 0
		.amdhsa_user_sgpr_kernarg_preload_length 0
		.amdhsa_user_sgpr_kernarg_preload_offset 0
		.amdhsa_user_sgpr_private_segment_size 0
		.amdhsa_uses_dynamic_stack 0
		.amdhsa_enable_private_segment 0
		.amdhsa_system_sgpr_workgroup_id_x 1
		.amdhsa_system_sgpr_workgroup_id_y 0
		.amdhsa_system_sgpr_workgroup_id_z 0
		.amdhsa_system_sgpr_workgroup_info 0
		.amdhsa_system_vgpr_workitem_id 0
		.amdhsa_next_free_vgpr 70
		.amdhsa_next_free_sgpr 22
		.amdhsa_accum_offset 72
		.amdhsa_reserve_vcc 1
		.amdhsa_float_round_mode_32 0
		.amdhsa_float_round_mode_16_64 0
		.amdhsa_float_denorm_mode_32 3
		.amdhsa_float_denorm_mode_16_64 3
		.amdhsa_dx10_clamp 1
		.amdhsa_ieee_mode 1
		.amdhsa_fp16_overflow 0
		.amdhsa_tg_split 0
		.amdhsa_exception_fp_ieee_invalid_op 0
		.amdhsa_exception_fp_denorm_src 0
		.amdhsa_exception_fp_ieee_div_zero 0
		.amdhsa_exception_fp_ieee_overflow 0
		.amdhsa_exception_fp_ieee_underflow 0
		.amdhsa_exception_fp_ieee_inexact 0
		.amdhsa_exception_int_div_zero 0
	.end_amdhsa_kernel
	.text
.Lfunc_end0:
	.size	fft_rtc_back_len224_factors_7_2_2_2_2_2_wgs_64_tpt_16_halfLds_sp_ip_CI_unitstride_sbrr_C2R_dirReg, .Lfunc_end0-fft_rtc_back_len224_factors_7_2_2_2_2_2_wgs_64_tpt_16_halfLds_sp_ip_CI_unitstride_sbrr_C2R_dirReg
                                        ; -- End function
	.section	.AMDGPU.csdata,"",@progbits
; Kernel info:
; codeLenInByte = 7892
; NumSgprs: 28
; NumVgprs: 70
; NumAgprs: 0
; TotalNumVgprs: 70
; ScratchSize: 0
; MemoryBound: 0
; FloatMode: 240
; IeeeMode: 1
; LDSByteSize: 0 bytes/workgroup (compile time only)
; SGPRBlocks: 3
; VGPRBlocks: 8
; NumSGPRsForWavesPerEU: 28
; NumVGPRsForWavesPerEU: 70
; AccumOffset: 72
; Occupancy: 7
; WaveLimiterHint : 1
; COMPUTE_PGM_RSRC2:SCRATCH_EN: 0
; COMPUTE_PGM_RSRC2:USER_SGPR: 2
; COMPUTE_PGM_RSRC2:TRAP_HANDLER: 0
; COMPUTE_PGM_RSRC2:TGID_X_EN: 1
; COMPUTE_PGM_RSRC2:TGID_Y_EN: 0
; COMPUTE_PGM_RSRC2:TGID_Z_EN: 0
; COMPUTE_PGM_RSRC2:TIDIG_COMP_CNT: 0
; COMPUTE_PGM_RSRC3_GFX90A:ACCUM_OFFSET: 17
; COMPUTE_PGM_RSRC3_GFX90A:TG_SPLIT: 0
	.text
	.p2alignl 6, 3212836864
	.fill 256, 4, 3212836864
	.type	__hip_cuid_96bc9b59ecabc125,@object ; @__hip_cuid_96bc9b59ecabc125
	.section	.bss,"aw",@nobits
	.globl	__hip_cuid_96bc9b59ecabc125
__hip_cuid_96bc9b59ecabc125:
	.byte	0                               ; 0x0
	.size	__hip_cuid_96bc9b59ecabc125, 1

	.ident	"AMD clang version 19.0.0git (https://github.com/RadeonOpenCompute/llvm-project roc-6.4.0 25133 c7fe45cf4b819c5991fe208aaa96edf142730f1d)"
	.section	".note.GNU-stack","",@progbits
	.addrsig
	.addrsig_sym __hip_cuid_96bc9b59ecabc125
	.amdgpu_metadata
---
amdhsa.kernels:
  - .agpr_count:     0
    .args:
      - .actual_access:  read_only
        .address_space:  global
        .offset:         0
        .size:           8
        .value_kind:     global_buffer
      - .offset:         8
        .size:           8
        .value_kind:     by_value
      - .actual_access:  read_only
        .address_space:  global
        .offset:         16
        .size:           8
        .value_kind:     global_buffer
      - .actual_access:  read_only
        .address_space:  global
        .offset:         24
        .size:           8
        .value_kind:     global_buffer
      - .offset:         32
        .size:           8
        .value_kind:     by_value
      - .actual_access:  read_only
        .address_space:  global
        .offset:         40
        .size:           8
        .value_kind:     global_buffer
      - .actual_access:  read_only
        .address_space:  global
        .offset:         48
        .size:           8
        .value_kind:     global_buffer
      - .offset:         56
        .size:           4
        .value_kind:     by_value
      - .actual_access:  read_only
        .address_space:  global
        .offset:         64
        .size:           8
        .value_kind:     global_buffer
      - .actual_access:  read_only
        .address_space:  global
        .offset:         72
        .size:           8
        .value_kind:     global_buffer
      - .address_space:  global
        .offset:         80
        .size:           8
        .value_kind:     global_buffer
    .group_segment_fixed_size: 0
    .kernarg_segment_align: 8
    .kernarg_segment_size: 88
    .language:       OpenCL C
    .language_version:
      - 2
      - 0
    .max_flat_workgroup_size: 64
    .name:           fft_rtc_back_len224_factors_7_2_2_2_2_2_wgs_64_tpt_16_halfLds_sp_ip_CI_unitstride_sbrr_C2R_dirReg
    .private_segment_fixed_size: 0
    .sgpr_count:     28
    .sgpr_spill_count: 0
    .symbol:         fft_rtc_back_len224_factors_7_2_2_2_2_2_wgs_64_tpt_16_halfLds_sp_ip_CI_unitstride_sbrr_C2R_dirReg.kd
    .uniform_work_group_size: 1
    .uses_dynamic_stack: false
    .vgpr_count:     70
    .vgpr_spill_count: 0
    .wavefront_size: 64
amdhsa.target:   amdgcn-amd-amdhsa--gfx950
amdhsa.version:
  - 1
  - 2
...

	.end_amdgpu_metadata
